;; amdgpu-corpus repo=ROCm/rocFFT kind=compiled arch=gfx906 opt=O3
	.text
	.amdgcn_target "amdgcn-amd-amdhsa--gfx906"
	.amdhsa_code_object_version 6
	.protected	fft_rtc_fwd_len330_factors_11_10_3_wgs_99_tpt_33_half_op_CI_CI_unitstride_sbrr_dirReg ; -- Begin function fft_rtc_fwd_len330_factors_11_10_3_wgs_99_tpt_33_half_op_CI_CI_unitstride_sbrr_dirReg
	.globl	fft_rtc_fwd_len330_factors_11_10_3_wgs_99_tpt_33_half_op_CI_CI_unitstride_sbrr_dirReg
	.p2align	8
	.type	fft_rtc_fwd_len330_factors_11_10_3_wgs_99_tpt_33_half_op_CI_CI_unitstride_sbrr_dirReg,@function
fft_rtc_fwd_len330_factors_11_10_3_wgs_99_tpt_33_half_op_CI_CI_unitstride_sbrr_dirReg: ; @fft_rtc_fwd_len330_factors_11_10_3_wgs_99_tpt_33_half_op_CI_CI_unitstride_sbrr_dirReg
; %bb.0:
	v_mul_u32_u24_e32 v1, 0x7c2, v0
	s_load_dwordx4 s[8:11], s[4:5], 0x58
	s_load_dwordx4 s[12:15], s[4:5], 0x0
	;; [unrolled: 1-line block ×3, first 2 shown]
	v_lshrrev_b32_e32 v1, 16, v1
	v_mad_u64_u32 v[8:9], s[0:1], s6, 3, v[1:2]
	v_mov_b32_e32 v10, 0
	s_waitcnt lgkmcnt(0)
	v_cmp_lt_u64_e64 s[0:1], s[14:15], 2
	v_mov_b32_e32 v6, 0
	v_mov_b32_e32 v9, v10
	;; [unrolled: 1-line block ×5, first 2 shown]
	s_and_b64 vcc, exec, s[0:1]
	v_mov_b32_e32 v2, v7
	v_mov_b32_e32 v4, v9
	s_cbranch_vccnz .LBB0_8
; %bb.1:
	s_load_dwordx2 s[0:1], s[4:5], 0x10
	s_add_u32 s2, s18, 8
	s_addc_u32 s3, s19, 0
	s_add_u32 s6, s16, 8
	s_addc_u32 s7, s17, 0
	v_mov_b32_e32 v6, 0
	s_waitcnt lgkmcnt(0)
	s_add_u32 s20, s0, 8
	v_mov_b32_e32 v7, 0
	v_mov_b32_e32 v1, v6
	;; [unrolled: 1-line block ×3, first 2 shown]
	s_addc_u32 s21, s1, 0
	s_mov_b64 s[22:23], 1
	v_mov_b32_e32 v2, v7
	v_mov_b32_e32 v12, v8
.LBB0_2:                                ; =>This Inner Loop Header: Depth=1
	s_load_dwordx2 s[24:25], s[20:21], 0x0
                                        ; implicit-def: $vgpr3_vgpr4
	s_waitcnt lgkmcnt(0)
	v_or_b32_e32 v11, s25, v13
	v_cmp_ne_u64_e32 vcc, 0, v[10:11]
	s_and_saveexec_b64 s[0:1], vcc
	s_xor_b64 s[26:27], exec, s[0:1]
	s_cbranch_execz .LBB0_4
; %bb.3:                                ;   in Loop: Header=BB0_2 Depth=1
	v_cvt_f32_u32_e32 v3, s24
	v_cvt_f32_u32_e32 v4, s25
	s_sub_u32 s0, 0, s24
	s_subb_u32 s1, 0, s25
	v_mac_f32_e32 v3, 0x4f800000, v4
	v_rcp_f32_e32 v3, v3
	v_mul_f32_e32 v3, 0x5f7ffffc, v3
	v_mul_f32_e32 v4, 0x2f800000, v3
	v_trunc_f32_e32 v4, v4
	v_mac_f32_e32 v3, 0xcf800000, v4
	v_cvt_u32_f32_e32 v4, v4
	v_cvt_u32_f32_e32 v3, v3
	v_mul_lo_u32 v5, s0, v4
	v_mul_hi_u32 v9, s0, v3
	v_mul_lo_u32 v14, s1, v3
	v_mul_lo_u32 v11, s0, v3
	v_add_u32_e32 v5, v9, v5
	v_add_u32_e32 v5, v5, v14
	v_mul_hi_u32 v9, v3, v11
	v_mul_lo_u32 v14, v3, v5
	v_mul_hi_u32 v16, v3, v5
	v_mul_hi_u32 v15, v4, v11
	v_mul_lo_u32 v11, v4, v11
	v_mul_hi_u32 v17, v4, v5
	v_add_co_u32_e32 v9, vcc, v9, v14
	v_addc_co_u32_e32 v14, vcc, 0, v16, vcc
	v_mul_lo_u32 v5, v4, v5
	v_add_co_u32_e32 v9, vcc, v9, v11
	v_addc_co_u32_e32 v9, vcc, v14, v15, vcc
	v_addc_co_u32_e32 v11, vcc, 0, v17, vcc
	v_add_co_u32_e32 v5, vcc, v9, v5
	v_addc_co_u32_e32 v9, vcc, 0, v11, vcc
	v_add_co_u32_e32 v3, vcc, v3, v5
	v_addc_co_u32_e32 v4, vcc, v4, v9, vcc
	v_mul_lo_u32 v5, s0, v4
	v_mul_hi_u32 v9, s0, v3
	v_mul_lo_u32 v11, s1, v3
	v_mul_lo_u32 v14, s0, v3
	v_add_u32_e32 v5, v9, v5
	v_add_u32_e32 v5, v5, v11
	v_mul_lo_u32 v15, v3, v5
	v_mul_hi_u32 v16, v3, v14
	v_mul_hi_u32 v17, v3, v5
	;; [unrolled: 1-line block ×3, first 2 shown]
	v_mul_lo_u32 v14, v4, v14
	v_mul_hi_u32 v9, v4, v5
	v_add_co_u32_e32 v15, vcc, v16, v15
	v_addc_co_u32_e32 v16, vcc, 0, v17, vcc
	v_mul_lo_u32 v5, v4, v5
	v_add_co_u32_e32 v14, vcc, v15, v14
	v_addc_co_u32_e32 v11, vcc, v16, v11, vcc
	v_addc_co_u32_e32 v9, vcc, 0, v9, vcc
	v_add_co_u32_e32 v5, vcc, v11, v5
	v_addc_co_u32_e32 v9, vcc, 0, v9, vcc
	v_add_co_u32_e32 v5, vcc, v3, v5
	v_addc_co_u32_e32 v9, vcc, v4, v9, vcc
	v_mad_u64_u32 v[3:4], s[0:1], v12, v9, 0
	v_mul_hi_u32 v11, v12, v5
	v_mad_u64_u32 v[14:15], s[0:1], v13, v9, 0
	v_add_co_u32_e32 v11, vcc, v11, v3
	v_addc_co_u32_e32 v16, vcc, 0, v4, vcc
	v_mad_u64_u32 v[3:4], s[0:1], v13, v5, 0
	v_add_co_u32_e32 v3, vcc, v11, v3
	v_addc_co_u32_e32 v3, vcc, v16, v4, vcc
	v_addc_co_u32_e32 v4, vcc, 0, v15, vcc
	v_add_co_u32_e32 v5, vcc, v3, v14
	v_addc_co_u32_e32 v9, vcc, 0, v4, vcc
	v_mul_lo_u32 v11, s25, v5
	v_mul_lo_u32 v14, s24, v9
	v_mad_u64_u32 v[3:4], s[0:1], s24, v5, 0
	v_add3_u32 v4, v4, v14, v11
	v_sub_u32_e32 v11, v13, v4
	v_mov_b32_e32 v14, s25
	v_sub_co_u32_e32 v3, vcc, v12, v3
	v_subb_co_u32_e64 v11, s[0:1], v11, v14, vcc
	v_subrev_co_u32_e64 v14, s[0:1], s24, v3
	v_subbrev_co_u32_e64 v11, s[0:1], 0, v11, s[0:1]
	v_cmp_le_u32_e64 s[0:1], s25, v11
	v_cndmask_b32_e64 v15, 0, -1, s[0:1]
	v_cmp_le_u32_e64 s[0:1], s24, v14
	v_cndmask_b32_e64 v14, 0, -1, s[0:1]
	v_cmp_eq_u32_e64 s[0:1], s25, v11
	v_cndmask_b32_e64 v11, v15, v14, s[0:1]
	v_add_co_u32_e64 v14, s[0:1], 2, v5
	v_addc_co_u32_e64 v15, s[0:1], 0, v9, s[0:1]
	v_add_co_u32_e64 v16, s[0:1], 1, v5
	v_addc_co_u32_e64 v17, s[0:1], 0, v9, s[0:1]
	v_subb_co_u32_e32 v4, vcc, v13, v4, vcc
	v_cmp_ne_u32_e64 s[0:1], 0, v11
	v_cmp_le_u32_e32 vcc, s25, v4
	v_cndmask_b32_e64 v11, v17, v15, s[0:1]
	v_cndmask_b32_e64 v15, 0, -1, vcc
	v_cmp_le_u32_e32 vcc, s24, v3
	v_cndmask_b32_e64 v3, 0, -1, vcc
	v_cmp_eq_u32_e32 vcc, s25, v4
	v_cndmask_b32_e32 v3, v15, v3, vcc
	v_cmp_ne_u32_e32 vcc, 0, v3
	v_cndmask_b32_e64 v3, v16, v14, s[0:1]
	v_cndmask_b32_e32 v4, v9, v11, vcc
	v_cndmask_b32_e32 v3, v5, v3, vcc
.LBB0_4:                                ;   in Loop: Header=BB0_2 Depth=1
	s_andn2_saveexec_b64 s[0:1], s[26:27]
	s_cbranch_execz .LBB0_6
; %bb.5:                                ;   in Loop: Header=BB0_2 Depth=1
	v_cvt_f32_u32_e32 v3, s24
	s_sub_i32 s26, 0, s24
	v_rcp_iflag_f32_e32 v3, v3
	v_mul_f32_e32 v3, 0x4f7ffffe, v3
	v_cvt_u32_f32_e32 v3, v3
	v_mul_lo_u32 v4, s26, v3
	v_mul_hi_u32 v4, v3, v4
	v_add_u32_e32 v3, v3, v4
	v_mul_hi_u32 v3, v12, v3
	v_mul_lo_u32 v4, v3, s24
	v_add_u32_e32 v5, 1, v3
	v_sub_u32_e32 v4, v12, v4
	v_subrev_u32_e32 v9, s24, v4
	v_cmp_le_u32_e32 vcc, s24, v4
	v_cndmask_b32_e32 v4, v4, v9, vcc
	v_cndmask_b32_e32 v3, v3, v5, vcc
	v_add_u32_e32 v5, 1, v3
	v_cmp_le_u32_e32 vcc, s24, v4
	v_cndmask_b32_e32 v3, v3, v5, vcc
	v_mov_b32_e32 v4, v10
.LBB0_6:                                ;   in Loop: Header=BB0_2 Depth=1
	s_or_b64 exec, exec, s[0:1]
	v_mul_lo_u32 v5, v4, s24
	v_mul_lo_u32 v9, v3, s25
	v_mad_u64_u32 v[14:15], s[0:1], v3, s24, 0
	s_load_dwordx2 s[0:1], s[6:7], 0x0
	s_load_dwordx2 s[24:25], s[2:3], 0x0
	v_add3_u32 v5, v15, v9, v5
	v_sub_co_u32_e32 v9, vcc, v12, v14
	v_subb_co_u32_e32 v5, vcc, v13, v5, vcc
	s_waitcnt lgkmcnt(0)
	v_mul_lo_u32 v11, s0, v5
	v_mul_lo_u32 v12, s1, v9
	v_mad_u64_u32 v[6:7], s[0:1], s0, v9, v[6:7]
	s_add_u32 s22, s22, 1
	s_addc_u32 s23, s23, 0
	s_add_u32 s2, s2, 8
	v_mul_lo_u32 v5, s24, v5
	v_mul_lo_u32 v13, s25, v9
	v_mad_u64_u32 v[1:2], s[0:1], s24, v9, v[1:2]
	v_add3_u32 v7, v12, v7, v11
	s_addc_u32 s3, s3, 0
	v_mov_b32_e32 v11, s14
	s_add_u32 s6, s6, 8
	v_mov_b32_e32 v12, s15
	s_addc_u32 s7, s7, 0
	v_cmp_ge_u64_e32 vcc, s[22:23], v[11:12]
	s_add_u32 s20, s20, 8
	v_add3_u32 v2, v13, v2, v5
	s_addc_u32 s21, s21, 0
	s_cbranch_vccnz .LBB0_8
; %bb.7:                                ;   in Loop: Header=BB0_2 Depth=1
	v_mov_b32_e32 v13, v4
	v_mov_b32_e32 v12, v3
	s_branch .LBB0_2
.LBB0_8:
	s_mov_b32 s2, 0xaaaaaaab
	s_load_dwordx2 s[0:1], s[4:5], 0x28
	v_mul_hi_u32 v5, v8, s2
	s_lshl_b64 s[6:7], s[14:15], 3
	s_add_u32 s2, s18, s6
	s_addc_u32 s3, s19, s7
	v_lshrrev_b32_e32 v5, 1, v5
	v_lshl_add_u32 v5, v5, 1, v5
	s_waitcnt lgkmcnt(0)
	v_cmp_gt_u64_e32 vcc, s[0:1], v[3:4]
	v_cmp_le_u64_e64 s[0:1], s[0:1], v[3:4]
	v_sub_u32_e32 v8, v8, v5
                                        ; implicit-def: $vgpr5
	s_and_saveexec_b64 s[4:5], s[0:1]
	s_xor_b64 s[0:1], exec, s[4:5]
; %bb.9:
	s_mov_b32 s4, 0x7c1f07d
	v_mul_hi_u32 v5, v0, s4
                                        ; implicit-def: $vgpr6_vgpr7
	v_mul_u32_u24_e32 v5, 33, v5
	v_sub_u32_e32 v5, v0, v5
                                        ; implicit-def: $vgpr0
; %bb.10:
	s_or_saveexec_b64 s[4:5], s[0:1]
	v_mul_u32_u24_e32 v19, 0x14a, v8
	v_lshlrev_b32_e32 v22, 2, v19
	s_xor_b64 exec, exec, s[4:5]
	s_cbranch_execz .LBB0_12
; %bb.11:
	s_add_u32 s0, s16, s6
	s_addc_u32 s1, s17, s7
	s_load_dwordx2 s[0:1], s[0:1], 0x0
	s_mov_b32 s6, 0x7c1f07d
	v_mul_hi_u32 v5, v0, s6
	v_lshlrev_b64 v[6:7], 2, v[6:7]
	s_waitcnt lgkmcnt(0)
	v_mul_lo_u32 v10, s1, v3
	v_mul_lo_u32 v11, s0, v4
	v_mad_u64_u32 v[8:9], s[0:1], s0, v3, 0
	v_mul_u32_u24_e32 v5, 33, v5
	v_sub_u32_e32 v5, v0, v5
	v_add3_u32 v9, v9, v11, v10
	v_lshlrev_b64 v[8:9], 2, v[8:9]
	v_mov_b32_e32 v0, s9
	v_add_co_u32_e64 v8, s[0:1], s8, v8
	v_addc_co_u32_e64 v0, s[0:1], v0, v9, s[0:1]
	v_add_co_u32_e64 v6, s[0:1], v8, v6
	v_addc_co_u32_e64 v0, s[0:1], v0, v7, s[0:1]
	v_lshlrev_b32_e32 v8, 2, v5
	v_add_co_u32_e64 v6, s[0:1], v6, v8
	v_addc_co_u32_e64 v7, s[0:1], 0, v0, s[0:1]
	global_load_dword v0, v[6:7], off
	global_load_dword v9, v[6:7], off offset:132
	global_load_dword v10, v[6:7], off offset:264
	;; [unrolled: 1-line block ×9, first 2 shown]
	v_add3_u32 v6, 0, v22, v8
	v_add_u32_e32 v7, 0x400, v6
	s_waitcnt vmcnt(8)
	ds_write2_b32 v6, v0, v9 offset1:33
	s_waitcnt vmcnt(6)
	ds_write2_b32 v6, v10, v11 offset0:66 offset1:99
	s_waitcnt vmcnt(4)
	ds_write2_b32 v6, v12, v13 offset0:132 offset1:165
	;; [unrolled: 2-line block ×4, first 2 shown]
.LBB0_12:
	s_or_b64 exec, exec, s[4:5]
	v_lshlrev_b32_e32 v6, 2, v5
	v_add_u32_e32 v21, 0, v6
	v_add_u32_e32 v18, v21, v22
	;; [unrolled: 1-line block ×3, first 2 shown]
	s_waitcnt lgkmcnt(0)
	s_barrier
	ds_read2_b32 v[12:13], v18 offset0:30 offset1:60
	ds_read2_b32 v[8:9], v0 offset0:14 offset1:44
	v_add_u32_e32 v0, 0, v22
	v_add_u32_e32 v23, v0, v6
	ds_read_b32 v6, v23
	ds_read2_b32 v[14:15], v18 offset0:90 offset1:120
	s_mov_b32 s19, 0xb853
	s_waitcnt lgkmcnt(2)
	v_pk_add_f16 v26, v9, v12
	v_pk_add_f16 v24, v12, v9 neg_lo:[0,1] neg_hi:[0,1]
	s_movk_i32 s7, 0x3abb
	v_mul_f16_sdwa v39, v24, s19 dst_sel:DWORD dst_unused:UNUSED_PAD src0_sel:WORD_1 src1_sel:DWORD
	v_lshrrev_b32_e32 v34, 16, v26
	v_mul_f16_e32 v41, 0xb853, v24
	v_pk_add_f16 v25, v13, v8 neg_lo:[0,1] neg_hi:[0,1]
	s_mov_b32 s18, 0xbb47
	v_fma_f16 v7, v26, s7, v39
	v_fma_f16 v10, v34, s7, -v41
	v_pk_add_f16 v28, v8, v13
	s_movk_i32 s8, 0x36a6
	v_mul_f16_sdwa v40, v25, s18 dst_sel:DWORD dst_unused:UNUSED_PAD src0_sel:WORD_1 src1_sel:DWORD
	s_waitcnt lgkmcnt(1)
	v_add_f16_e32 v7, v6, v7
	v_add_f16_sdwa v16, v6, v10 dst_sel:DWORD dst_unused:UNUSED_PAD src0_sel:WORD_1 src1_sel:DWORD
	v_fma_f16 v10, v28, s8, v40
	v_add_f16_e32 v7, v10, v7
	ds_read2_b32 v[10:11], v18 offset0:210 offset1:240
	v_lshrrev_b32_e32 v35, 16, v28
	v_mul_f16_e32 v43, 0xbb47, v25
	s_mov_b32 s6, 0xbbeb
	v_fma_f16 v17, v35, s8, -v43
	s_waitcnt lgkmcnt(0)
	v_pk_add_f16 v27, v14, v11 neg_lo:[0,1] neg_hi:[0,1]
	s_mov_b32 s9, 0xb08e
	v_pk_add_f16 v30, v11, v14
	v_mul_f16_sdwa v42, v27, s6 dst_sel:DWORD dst_unused:UNUSED_PAD src0_sel:WORD_1 src1_sel:DWORD
	v_add_f16_e32 v16, v17, v16
	v_fma_f16 v17, v30, s9, v42
	v_lshrrev_b32_e32 v36, 16, v30
	v_mul_f16_e32 v45, 0xbbeb, v27
	s_mov_b32 s14, 0xba0c
	v_pk_add_f16 v29, v15, v10 neg_lo:[0,1] neg_hi:[0,1]
	v_add_f16_e32 v7, v17, v7
	v_fma_f16 v17, v36, s9, -v45
	s_mov_b32 s15, 0xb93d
	v_pk_add_f16 v32, v10, v15
	v_mul_f16_sdwa v44, v29, s14 dst_sel:DWORD dst_unused:UNUSED_PAD src0_sel:WORD_1 src1_sel:DWORD
	v_add_f16_e32 v20, v17, v16
	v_fma_f16 v16, v32, s15, v44
	v_add_f16_e32 v7, v16, v7
	ds_read2_b32 v[16:17], v18 offset0:150 offset1:180
	v_lshrrev_b32_e32 v37, 16, v32
	v_mul_f16_e32 v47, 0xba0c, v29
	v_fma_f16 v31, v37, s15, -v47
	v_add_f16_e32 v20, v31, v20
	s_waitcnt lgkmcnt(0)
	v_pk_add_f16 v33, v17, v16
	v_pk_add_f16 v31, v16, v17 neg_lo:[0,1] neg_hi:[0,1]
	s_mov_b32 s17, 0xbbad
	v_lshrrev_b32_e32 v38, 16, v33
	v_mul_f16_e32 v48, 0xb482, v31
	v_fma_f16 v46, v38, s17, -v48
	s_mov_b32 s16, 0xb482
	v_add_f16_e32 v20, v46, v20
	v_mul_f16_sdwa v46, v31, s16 dst_sel:DWORD dst_unused:UNUSED_PAD src0_sel:WORD_1 src1_sel:DWORD
	v_fma_f16 v49, v33, s17, v46
	v_add_f16_e32 v7, v49, v7
	v_cmp_gt_u32_e64 s[0:1], 30, v5
	s_barrier
	s_and_saveexec_b64 s[4:5], s[0:1]
	s_cbranch_execz .LBB0_14
; %bb.13:
	v_mul_f16_e32 v49, 0xba0c, v24
	v_fma_f16 v50, v34, s15, v49
	v_mul_f16_e32 v51, 0x3beb, v25
	v_add_f16_sdwa v50, v6, v50 dst_sel:DWORD dst_unused:UNUSED_PAD src0_sel:WORD_1 src1_sel:DWORD
	v_fma_f16 v52, v35, s9, v51
	v_add_f16_e32 v50, v52, v50
	v_mul_f16_e32 v52, 0xb853, v27
	v_fma_f16 v53, v36, s7, v52
	v_add_f16_e32 v50, v53, v50
	v_mul_f16_e32 v53, 0xb482, v29
	v_fma_f16 v54, v37, s17, v53
	v_add_f16_e32 v50, v54, v50
	s_movk_i32 s0, 0x3b47
	v_mul_f16_e32 v54, 0x36a6, v38
	v_fma_f16 v55, v31, s0, v54
	s_movk_i32 s1, 0x3beb
	v_add_f16_e32 v50, v55, v50
	v_mul_f16_sdwa v55, v24, s14 dst_sel:DWORD dst_unused:UNUSED_PAD src0_sel:WORD_1 src1_sel:DWORD
	v_fma_f16 v56, v26, s15, -v55
	v_mul_f16_sdwa v57, v25, s1 dst_sel:DWORD dst_unused:UNUSED_PAD src0_sel:WORD_1 src1_sel:DWORD
	v_add_f16_e32 v56, v6, v56
	v_fma_f16 v58, v28, s9, -v57
	v_add_f16_e32 v56, v58, v56
	v_mul_f16_sdwa v58, v27, s19 dst_sel:DWORD dst_unused:UNUSED_PAD src0_sel:WORD_1 src1_sel:DWORD
	v_fma_f16 v59, v30, s7, -v58
	v_add_f16_e32 v56, v59, v56
	v_mul_f16_sdwa v59, v29, s16 dst_sel:DWORD dst_unused:UNUSED_PAD src0_sel:WORD_1 src1_sel:DWORD
	;; [unrolled: 3-line block ×3, first 2 shown]
	v_fma_f16 v61, v33, s8, -v60
	v_add_f16_e32 v56, v61, v56
	v_mul_f16_e32 v61, 0xbbeb, v24
	v_fma_f16 v62, v34, s9, v61
	v_mul_f16_e32 v63, 0x3482, v25
	v_add_f16_sdwa v62, v6, v62 dst_sel:DWORD dst_unused:UNUSED_PAD src0_sel:WORD_1 src1_sel:DWORD
	v_fma_f16 v64, v35, s17, v63
	v_add_f16_e32 v62, v64, v62
	v_mul_f16_e32 v64, 0x3b47, v27
	v_fma_f16 v65, v36, s8, v64
	v_add_f16_e32 v62, v65, v62
	v_mul_f16_e32 v65, 0xb853, v29
	;; [unrolled: 3-line block ×3, first 2 shown]
	v_fma_f16 v67, v38, s15, v66
	v_add_f16_e32 v62, v67, v62
	v_mul_f16_sdwa v67, v24, s18 dst_sel:DWORD dst_unused:UNUSED_PAD src0_sel:WORD_1 src1_sel:DWORD
	v_fma_f16 v68, v26, s8, -v67
	v_mul_f16_sdwa v69, v25, s14 dst_sel:DWORD dst_unused:UNUSED_PAD src0_sel:WORD_1 src1_sel:DWORD
	v_add_f16_e32 v68, v6, v68
	v_fma_f16 v70, v28, s15, -v69
	s_movk_i32 s18, 0x3482
	v_add_f16_e32 v68, v70, v68
	v_mul_f16_sdwa v70, v27, s18 dst_sel:DWORD dst_unused:UNUSED_PAD src0_sel:WORD_1 src1_sel:DWORD
	v_fma_f16 v71, v30, s17, -v70
	v_add_f16_e32 v68, v71, v68
	v_mul_f16_sdwa v71, v29, s1 dst_sel:DWORD dst_unused:UNUSED_PAD src0_sel:WORD_1 src1_sel:DWORD
	v_fma_f16 v72, v32, s9, -v71
	s_movk_i32 s1, 0x3853
	v_add_f16_e32 v68, v72, v68
	v_mul_f16_sdwa v72, v31, s1 dst_sel:DWORD dst_unused:UNUSED_PAD src0_sel:WORD_1 src1_sel:DWORD
	v_fma_f16 v73, v33, s7, -v72
	v_add_f16_e32 v68, v73, v68
	v_mul_f16_e32 v73, 0x3abb, v34
	v_add_f16_e32 v41, v41, v73
	v_mul_f16_e32 v73, 0x36a6, v35
	v_add_f16_e32 v43, v43, v73
	v_add_f16_sdwa v41, v6, v41 dst_sel:DWORD dst_unused:UNUSED_PAD src0_sel:WORD_1 src1_sel:DWORD
	v_add_f16_e32 v41, v43, v41
	v_mul_f16_e32 v43, 0xb08e, v36
	v_add_f16_e32 v43, v45, v43
	v_add_f16_e32 v41, v43, v41
	v_mul_f16_e32 v43, 0xb93d, v37
	v_add_f16_e32 v43, v47, v43
	;; [unrolled: 3-line block ×3, first 2 shown]
	v_add_f16_e32 v41, v43, v41
	v_mul_f16_e32 v43, 0x3abb, v26
	v_sub_f16_e32 v39, v43, v39
	v_mul_f16_e32 v43, 0x36a6, v28
	v_sub_f16_e32 v40, v43, v40
	v_add_f16_e32 v39, v6, v39
	v_add_f16_e32 v39, v40, v39
	v_mul_f16_e32 v40, 0xb08e, v30
	v_sub_f16_e32 v40, v40, v42
	v_add_f16_e32 v39, v40, v39
	v_mul_f16_e32 v40, 0xb93d, v32
	v_sub_f16_e32 v40, v40, v44
	v_pk_add_f16 v12, v6, v12
	v_add_f16_e32 v39, v40, v39
	v_mul_f16_e32 v40, 0xbbad, v33
	v_pk_add_f16 v12, v12, v13
	v_sub_f16_e32 v40, v40, v46
	v_pk_add_f16 v12, v12, v14
	v_add_f16_e32 v39, v40, v39
	v_fma_f16 v40, v34, s15, -v49
	v_fma_f16 v34, v34, s9, -v61
	v_pk_add_f16 v12, v12, v15
	v_fma_f16 v49, v26, s8, v67
	v_add_f16_sdwa v40, v6, v40 dst_sel:DWORD dst_unused:UNUSED_PAD src0_sel:WORD_1 src1_sel:DWORD
	v_fma_f16 v42, v35, s9, -v51
	v_fma_f16 v35, v35, s17, -v63
	v_add_f16_sdwa v34, v6, v34 dst_sel:DWORD dst_unused:UNUSED_PAD src0_sel:WORD_1 src1_sel:DWORD
	v_add_f16_e32 v49, v6, v49
	v_fma_f16 v51, v28, s15, v69
	v_pk_add_f16 v12, v12, v16
	v_add_f16_e32 v40, v42, v40
	v_fma_f16 v42, v36, s7, -v52
	v_add_f16_e32 v34, v35, v34
	v_fma_f16 v36, v36, s8, -v64
	v_add_f16_e32 v49, v51, v49
	v_fma_f16 v52, v30, s17, v70
	v_pk_add_f16 v12, v12, v17
	s_mov_b32 s18, 0x36a6b08e
	v_add_f16_e32 v34, v36, v34
	v_fma_f16 v46, v37, s17, -v53
	v_fma_f16 v37, v37, s7, -v65
	v_add_f16_e32 v49, v52, v49
	v_fma_f16 v53, v32, s9, v71
	v_pk_add_f16 v10, v12, v10
	v_add_f16_e32 v40, v42, v40
	v_fma_f16 v42, v26, s15, v55
	v_pk_mul_f16 v44, v26, s18
	s_mov_b32 s18, 0xbbebbb47
	s_mov_b32 s19, 0xb93dbbad
	v_add_f16_e32 v34, v37, v34
	v_fma_f16 v37, v38, s15, -v66
	v_add_f16_e32 v49, v53, v49
	v_fma_f16 v55, v33, s7, v72
	v_pk_add_f16 v10, v10, v11
	v_pk_mul_f16 v35, v28, s19
	s_mov_b32 s19, 0x3482ba0c
	s_mov_b32 s20, 0xbbad36a6
	v_add_f16_e32 v34, v37, v34
	v_pk_fma_f16 v37, v24, s18, v44 op_sel:[0,0,1] op_sel_hi:[1,1,0]
	v_add_f16_e32 v49, v55, v49
	v_mul_u32_u24_e32 v55, 40, v5
	v_pk_add_f16 v8, v10, v8
	v_pk_mul_f16 v45, v30, s20
	s_mov_b32 s20, 0x3b473482
	v_alignbit_b32 v38, s0, v37, 16
	v_pk_fma_f16 v13, v25, s19, v35 op_sel:[0,0,1] op_sel_hi:[1,1,0]
	v_pk_fma_f16 v44, v24, s18, v44 op_sel:[0,0,1] op_sel_hi:[1,1,0] neg_lo:[1,0,0] neg_hi:[1,0,0]
	v_add3_u32 v55, v21, v55, v22
	v_pk_add_f16 v8, v8, v9
	v_pack_b32_f16 v9, v39, v41
	s_mov_b32 s18, 0xffff
	s_mov_b32 s21, 0xb08e3abb
	v_pk_add_f16 v38, v6, v38
	v_alignbit_b32 v48, s0, v13, 16
	v_pk_fma_f16 v14, v27, s20, v45 op_sel:[0,0,1] op_sel_hi:[1,1,0]
	v_pk_fma_f16 v35, v25, s19, v35 op_sel:[0,0,1] op_sel_hi:[1,1,0] neg_lo:[1,0,0] neg_hi:[1,0,0]
	ds_write2_b32 v55, v8, v9 offset1:1
	v_bfi_b32 v8, s18, v37, v44
	v_pk_mul_f16 v36, v32, s21
	s_mov_b32 s21, 0xb8533beb
	v_pk_add_f16 v38, v48, v38
	v_alignbit_b32 v15, s0, v14, 16
	v_pk_fma_f16 v45, v27, s20, v45 op_sel:[0,0,1] op_sel_hi:[1,1,0] neg_lo:[1,0,0] neg_hi:[1,0,0]
	v_pk_add_f16 v8, v6, v8 op_sel:[1,0] op_sel_hi:[0,1]
	v_bfi_b32 v9, s18, v13, v35
	s_mov_b32 s22, 0x3abbb93d
	v_pk_add_f16 v15, v15, v38
	v_pk_fma_f16 v38, v29, s21, v36 op_sel:[0,0,1] op_sel_hi:[1,1,0]
	v_pk_fma_f16 v36, v29, s21, v36 op_sel:[0,0,1] op_sel_hi:[1,1,0] neg_lo:[1,0,0] neg_hi:[1,0,0]
	v_pk_add_f16 v8, v9, v8
	v_bfi_b32 v9, s18, v14, v45
	v_pk_mul_f16 v47, v33, s22
	s_mov_b32 s22, 0xba0c3853
	v_pk_add_f16 v8, v9, v8
	v_bfi_b32 v9, s18, v38, v36
	v_pk_fma_f16 v52, v31, s22, v47 op_sel:[0,0,1] op_sel_hi:[1,1,0] neg_lo:[1,0,0] neg_hi:[1,0,0]
	v_pk_add_f16 v8, v9, v8
	v_pk_fma_f16 v9, v31, s22, v47 op_sel:[0,0,1] op_sel_hi:[1,1,0]
	v_bfi_b32 v9, s18, v9, v52
	v_pk_add_f16 v8, v9, v8
	v_alignbit_b32 v9, v62, v8, 16
	v_pack_b32_f16 v8, v68, v8
	ds_write2_b32 v55, v8, v9 offset0:2 offset1:3
	v_pack_b32_f16 v8, v56, v50
	ds_write_b32 v55, v8 offset:16
	v_pk_mul_f16 v8, v26, s17 op_sel_hi:[1,0]
	v_pk_fma_f16 v9, v24, s16, v8 op_sel:[0,0,1] op_sel_hi:[1,0,0] neg_lo:[1,0,0] neg_hi:[1,0,0]
	v_pk_mul_f16 v11, v28, s7 op_sel_hi:[1,0]
	v_alignbit_b32 v10, s0, v9, 16
	v_pk_fma_f16 v12, v25, s1, v11 op_sel:[0,0,1] op_sel_hi:[1,0,0] neg_lo:[1,0,0] neg_hi:[1,0,0]
	v_pk_add_f16 v10, v6, v10
	v_alignbit_b32 v13, s0, v12, 16
	v_pk_add_f16 v10, v13, v10
	v_pk_mul_f16 v13, v30, s15 op_sel_hi:[1,0]
	v_pk_fma_f16 v14, v27, s14, v13 op_sel:[0,0,1] op_sel_hi:[1,0,0] neg_lo:[1,0,0] neg_hi:[1,0,0]
	v_alignbit_b32 v16, s0, v14, 16
	v_pk_add_f16 v10, v16, v10
	v_pk_mul_f16 v16, v32, s8 op_sel_hi:[1,0]
	v_alignbit_b32 v51, s0, v6, 16
	v_pk_fma_f16 v17, v29, s0, v16 op_sel:[0,0,1] op_sel_hi:[1,0,0] neg_lo:[1,0,0] neg_hi:[1,0,0]
	v_pk_fma_f16 v8, v24, s16, v8 op_sel:[0,0,1] op_sel_hi:[1,0,0]
	v_add_f16_e32 v42, v6, v42
	v_add_f16_sdwa v53, v6, v44 dst_sel:DWORD dst_unused:UNUSED_PAD src0_sel:WORD_1 src1_sel:DWORD
	v_alignbit_b32 v26, s0, v17, 16
	v_pk_add_f16 v9, v51, v9
	v_pk_add_f16 v6, v6, v8 op_sel:[1,0] op_sel_hi:[0,1]
	v_pk_fma_f16 v8, v25, s1, v11 op_sel:[0,0,1] op_sel_hi:[1,0,0]
	v_pk_add_f16 v10, v26, v10
	v_pk_mul_f16 v26, v33, s9 op_sel_hi:[1,0]
	v_pk_add_f16 v9, v12, v9
	v_pk_add_f16 v6, v8, v6
	v_pk_fma_f16 v8, v27, s14, v13 op_sel:[0,0,1] op_sel_hi:[1,0,0]
	v_fma_f16 v43, v28, s9, v57
	v_pk_fma_f16 v28, v31, s6, v26 op_sel:[0,0,1] op_sel_hi:[1,0,0] neg_lo:[1,0,0] neg_hi:[1,0,0]
	v_pk_add_f16 v9, v14, v9
	v_pk_add_f16 v6, v8, v6
	v_pk_fma_f16 v8, v29, s0, v16 op_sel:[0,0,1] op_sel_hi:[1,0,0]
	v_add_f16_e32 v42, v43, v42
	v_fma_f16 v43, v30, s7, v58
	v_alignbit_b32 v30, s0, v28, 16
	v_pk_add_f16 v9, v17, v9
	v_pk_add_f16 v6, v8, v6
	v_pk_fma_f16 v8, v31, s6, v26 op_sel:[0,0,1] op_sel_hi:[1,0,0]
	v_add_f16_e32 v42, v43, v42
	v_fma_f16 v43, v32, s17, v59
	v_pk_add_f16 v10, v30, v10
	v_pk_add_f16 v9, v28, v9
	;; [unrolled: 1-line block ×3, first 2 shown]
	v_add_f16_e32 v42, v43, v42
	v_fma_f16 v43, v33, s8, v60
	v_alignbit_b32 v8, v9, v6, 16
	v_pack_b32_f16 v6, v10, v6
	v_add_f16_e32 v42, v43, v42
	v_mul_f16_e32 v43, 0x3b47, v31
	ds_write2_b32 v55, v6, v8 offset0:5 offset1:6
	v_lshlrev_b32_e32 v6, 16, v15
	v_pk_mul_f16 v48, v31, s22
	v_pk_add_f16 v8, v54, v43 neg_lo:[0,1] neg_hi:[0,1]
	v_pk_add_f16 v6, v38, v6
	v_add_f16_e32 v53, v35, v53
	v_bfi_b32 v6, s18, v8, v6
	v_pack_b32_f16 v8, v46, v47
	v_bfi_b32 v9, s18, v40, v48
	v_add_f16_e32 v53, v45, v53
	v_pk_add_f16 v8, v8, v9
	v_add_f16_e32 v53, v36, v53
	v_pk_add_f16 v6, v6, v8
	v_add_f16_e32 v53, v52, v53
	v_alignbit_b32 v8, v34, v6, 16
	v_pack_b32_f16 v6, v42, v6
	s_mov_b32 s0, 0x5040100
	ds_write2_b32 v55, v6, v8 offset0:7 offset1:8
	v_pack_b32_f16 v6, v49, v53
	v_perm_b32 v8, v20, v7, s0
	ds_write2_b32 v55, v6, v8 offset0:9 offset1:10
.LBB0_14:
	s_or_b64 exec, exec, s[4:5]
	s_movk_i32 s0, 0x75
	v_mul_lo_u16_sdwa v6, v5, s0 dst_sel:DWORD dst_unused:UNUSED_PAD src0_sel:BYTE_0 src1_sel:DWORD
	v_sub_u16_sdwa v8, v5, v6 dst_sel:DWORD dst_unused:UNUSED_PAD src0_sel:DWORD src1_sel:BYTE_1
	v_lshrrev_b16_e32 v8, 1, v8
	v_and_b32_e32 v8, 0x7f, v8
	v_add_u16_sdwa v6, v8, v6 dst_sel:DWORD dst_unused:UNUSED_PAD src0_sel:DWORD src1_sel:BYTE_1
	v_lshrrev_b16_e32 v30, 3, v6
	v_mul_lo_u16_e32 v6, 11, v30
	v_sub_u16_e32 v31, v5, v6
	v_mov_b32_e32 v6, 9
	v_mul_u32_u24_sdwa v6, v31, v6 dst_sel:DWORD dst_unused:UNUSED_PAD src0_sel:BYTE_0 src1_sel:DWORD
	v_lshlrev_b32_e32 v6, 2, v6
	s_load_dwordx2 s[4:5], s[2:3], 0x0
	s_waitcnt lgkmcnt(0)
	s_barrier
	global_load_dwordx4 v[8:11], v6, s[12:13]
	global_load_dwordx4 v[12:15], v6, s[12:13] offset:16
	global_load_dword v32, v6, s[12:13] offset:32
	ds_read2_b32 v[16:17], v18 offset0:33 offset1:66
	ds_read2_b32 v[24:25], v18 offset0:99 offset1:132
	;; [unrolled: 1-line block ×3, first 2 shown]
	v_add_u32_e32 v33, 0x200, v18
	ds_read_b32 v6, v23
	ds_read_b32 v34, v18 offset:1188
	ds_read2_b32 v[28:29], v33 offset0:103 offset1:136
	s_waitcnt lgkmcnt(4)
	v_lshrrev_b32_e32 v41, 16, v25
	s_waitcnt lgkmcnt(3)
	v_lshrrev_b32_e32 v36, 16, v27
	v_lshrrev_b32_e32 v39, 16, v17
	s_waitcnt lgkmcnt(1)
	v_lshrrev_b32_e32 v37, 16, v34
	s_waitcnt lgkmcnt(0)
	v_lshrrev_b32_e32 v44, 16, v29
	v_lshrrev_b32_e32 v38, 16, v16
	;; [unrolled: 1-line block ×4, first 2 shown]
	s_movk_i32 s0, 0x3b9c
	s_mov_b32 s3, 0xbb9c
	s_movk_i32 s1, 0x38b4
	s_mov_b32 s6, 0xb8b4
	v_lshrrev_b32_e32 v35, 16, v6
	v_lshrrev_b32_e32 v43, 16, v28
	s_movk_i32 s2, 0x34f2
	s_movk_i32 s7, 0x3a79
	s_waitcnt vmcnt(0)
	s_barrier
	v_mul_f16_sdwa v51, v11, v41 dst_sel:DWORD dst_unused:UNUSED_PAD src0_sel:WORD_1 src1_sel:DWORD
	v_mul_f16_sdwa v55, v36, v13 dst_sel:DWORD dst_unused:UNUSED_PAD src0_sel:DWORD src1_sel:WORD_1
	v_mul_f16_sdwa v47, v9, v39 dst_sel:DWORD dst_unused:UNUSED_PAD src0_sel:WORD_1 src1_sel:DWORD
	v_mul_f16_sdwa v48, v9, v17 dst_sel:DWORD dst_unused:UNUSED_PAD src0_sel:WORD_1 src1_sel:DWORD
	;; [unrolled: 1-line block ×3, first 2 shown]
	v_mul_f16_sdwa v56, v27, v13 dst_sel:DWORD dst_unused:UNUSED_PAD src0_sel:DWORD src1_sel:WORD_1
	v_mul_f16_sdwa v59, v44, v15 dst_sel:DWORD dst_unused:UNUSED_PAD src0_sel:DWORD src1_sel:WORD_1
	;; [unrolled: 1-line block ×5, first 2 shown]
	v_fma_f16 v25, v11, v25, -v51
	v_fma_f16 v27, v27, v13, -v55
	v_mul_f16_sdwa v45, v8, v38 dst_sel:DWORD dst_unused:UNUSED_PAD src0_sel:WORD_1 src1_sel:DWORD
	v_mul_f16_sdwa v46, v8, v16 dst_sel:DWORD dst_unused:UNUSED_PAD src0_sel:WORD_1 src1_sel:DWORD
	;; [unrolled: 1-line block ×6, first 2 shown]
	v_fma_f16 v17, v9, v17, -v47
	v_fma_f16 v9, v9, v39, v48
	v_fma_f16 v29, v29, v15, -v59
	v_fma_f16 v15, v44, v15, v60
	;; [unrolled: 2-line block ×3, first 2 shown]
	v_add_f16_e32 v37, v25, v27
	v_fma_f16 v16, v8, v16, -v45
	v_fma_f16 v8, v8, v38, v46
	v_fma_f16 v24, v10, v24, -v49
	v_fma_f16 v10, v10, v40, v50
	v_fma_f16 v11, v11, v41, v52
	v_fma_f16 v26, v12, v26, -v53
	v_fma_f16 v12, v12, v42, v54
	v_fma_f16 v13, v36, v13, v56
	v_sub_f16_e32 v38, v9, v15
	v_sub_f16_e32 v40, v17, v25
	;; [unrolled: 1-line block ×3, first 2 shown]
	v_add_f16_e32 v42, v17, v29
	v_fma_f16 v37, v37, -0.5, v6
	v_add_f16_e32 v36, v6, v17
	v_sub_f16_e32 v39, v11, v13
	v_add_f16_e32 v40, v40, v41
	v_fma_f16 v6, v42, -0.5, v6
	v_fma_f16 v41, v38, s0, v37
	v_fma_f16 v37, v38, s3, v37
	v_mul_f16_sdwa v57, v43, v14 dst_sel:DWORD dst_unused:UNUSED_PAD src0_sel:DWORD src1_sel:WORD_1
	v_mul_f16_sdwa v58, v28, v14 dst_sel:DWORD dst_unused:UNUSED_PAD src0_sel:DWORD src1_sel:WORD_1
	v_add_f16_e32 v36, v36, v25
	v_fma_f16 v42, v39, s3, v6
	v_fma_f16 v41, v39, s1, v41
	;; [unrolled: 1-line block ×4, first 2 shown]
	v_add_f16_e32 v39, v11, v13
	v_fma_f16 v28, v28, v14, -v57
	v_fma_f16 v14, v43, v14, v58
	v_add_f16_e32 v36, v36, v27
	v_fma_f16 v41, v40, s2, v41
	v_fma_f16 v37, v40, s2, v37
	v_sub_f16_e32 v40, v25, v17
	v_sub_f16_e32 v43, v27, v29
	v_fma_f16 v39, v39, -0.5, v35
	v_sub_f16_e32 v17, v17, v29
	v_add_f16_e32 v36, v36, v29
	v_fma_f16 v42, v38, s1, v42
	v_add_f16_e32 v40, v40, v43
	v_fma_f16 v6, v38, s6, v6
	v_fma_f16 v29, v17, s3, v39
	v_sub_f16_e32 v25, v25, v27
	v_fma_f16 v42, v40, s2, v42
	v_fma_f16 v6, v40, s2, v6
	;; [unrolled: 1-line block ×3, first 2 shown]
	v_sub_f16_e32 v29, v9, v11
	v_sub_f16_e32 v40, v15, v13
	v_fma_f16 v39, v17, s0, v39
	v_add_f16_e32 v38, v35, v9
	v_add_f16_e32 v29, v29, v40
	v_fma_f16 v39, v25, s1, v39
	v_add_f16_e32 v38, v38, v11
	v_fma_f16 v27, v29, s2, v27
	v_fma_f16 v29, v29, s2, v39
	v_add_f16_e32 v39, v9, v15
	v_add_f16_e32 v38, v38, v13
	v_fma_f16 v35, v39, -0.5, v35
	v_add_f16_e32 v38, v38, v15
	v_fma_f16 v39, v25, s0, v35
	v_sub_f16_e32 v9, v11, v9
	v_sub_f16_e32 v11, v13, v15
	v_fma_f16 v13, v25, s3, v35
	v_add_f16_e32 v15, v26, v28
	v_fma_f16 v39, v17, s6, v39
	v_add_f16_e32 v9, v9, v11
	v_fma_f16 v13, v17, s1, v13
	v_fma_f16 v15, v15, -0.5, v16
	v_sub_f16_e32 v17, v10, v32
	v_fma_f16 v11, v9, s2, v39
	v_fma_f16 v25, v17, s0, v15
	v_sub_f16_e32 v35, v12, v14
	v_sub_f16_e32 v39, v24, v26
	;; [unrolled: 1-line block ×3, first 2 shown]
	v_fma_f16 v15, v17, s3, v15
	v_fma_f16 v25, v35, s1, v25
	v_add_f16_e32 v39, v39, v40
	v_fma_f16 v15, v35, s6, v15
	v_fma_f16 v25, v39, s2, v25
	;; [unrolled: 1-line block ×3, first 2 shown]
	v_add_f16_e32 v39, v24, v34
	v_fma_f16 v9, v9, s2, v13
	v_add_f16_e32 v13, v16, v24
	v_fma_f16 v16, v39, -0.5, v16
	v_add_f16_e32 v13, v13, v26
	v_fma_f16 v39, v35, s3, v16
	v_fma_f16 v16, v35, s0, v16
	v_add_f16_e32 v35, v12, v14
	v_add_f16_e32 v13, v13, v28
	v_sub_f16_e32 v40, v26, v24
	v_sub_f16_e32 v43, v28, v34
	v_fma_f16 v35, v35, -0.5, v8
	v_sub_f16_e32 v24, v24, v34
	v_add_f16_e32 v13, v13, v34
	v_fma_f16 v39, v17, s1, v39
	v_add_f16_e32 v40, v40, v43
	v_fma_f16 v16, v17, s6, v16
	v_fma_f16 v34, v24, s3, v35
	v_sub_f16_e32 v26, v26, v28
	v_fma_f16 v39, v40, s2, v39
	v_fma_f16 v16, v40, s2, v16
	v_fma_f16 v28, v26, s6, v34
	v_sub_f16_e32 v34, v10, v12
	v_sub_f16_e32 v40, v32, v14
	v_fma_f16 v35, v24, s0, v35
	v_add_f16_e32 v34, v34, v40
	v_fma_f16 v35, v26, s1, v35
	v_fma_f16 v28, v34, s2, v28
	;; [unrolled: 1-line block ×3, first 2 shown]
	v_add_f16_e32 v35, v10, v32
	v_add_f16_e32 v17, v8, v10
	v_fma_f16 v8, v35, -0.5, v8
	v_add_f16_e32 v17, v17, v12
	v_fma_f16 v35, v26, s0, v8
	v_sub_f16_e32 v10, v12, v10
	v_sub_f16_e32 v12, v14, v32
	v_fma_f16 v35, v24, s6, v35
	v_add_f16_e32 v10, v10, v12
	v_fma_f16 v12, v10, s2, v35
	v_fma_f16 v8, v26, s3, v8
	;; [unrolled: 1-line block ×3, first 2 shown]
	v_mul_f16_e32 v24, 0x3b9c, v12
	v_add_f16_e32 v17, v17, v14
	v_fma_f16 v8, v10, s2, v8
	v_mul_f16_e32 v14, 0x38b4, v28
	v_fma_f16 v24, v39, s2, v24
	v_mul_f16_e32 v35, 0x34f2, v16
	v_mul_f16_e32 v39, 0xbb9c, v39
	v_fma_f16 v14, v25, s7, v14
	v_fma_f16 v35, v8, s0, -v35
	v_mul_f16_e32 v25, 0xb8b4, v25
	v_fma_f16 v12, v12, s2, v39
	v_mul_f16_e32 v8, 0x34f2, v8
	v_add_f16_e32 v17, v17, v32
	v_mul_f16_e32 v43, 0x3a79, v15
	v_fma_f16 v25, v28, s7, v25
	v_add_f16_e32 v39, v11, v12
	v_fma_f16 v8, v16, s3, -v8
	v_sub_f16_e32 v11, v11, v12
	s_movk_i32 s0, 0x1b8
	v_mov_b32_e32 v12, 2
	v_add_f16_e32 v10, v36, v13
	v_add_f16_e32 v26, v41, v14
	v_fma_f16 v43, v34, s1, -v43
	v_add_f16_e32 v45, v38, v17
	v_add_f16_e32 v28, v27, v25
	;; [unrolled: 1-line block ×3, first 2 shown]
	v_mul_f16_e32 v34, 0x3a79, v34
	v_sub_f16_e32 v8, v9, v8
	v_mad_u32_u24 v9, v30, s0, 0
	v_lshlrev_b32_sdwa v12, v12, v31 dst_sel:DWORD dst_unused:UNUSED_PAD src0_sel:DWORD src1_sel:BYTE_0
	v_add_f16_e32 v32, v42, v24
	v_add_f16_e32 v40, v6, v35
	v_fma_f16 v15, v15, s6, -v34
	v_add3_u32 v9, v9, v12, v22
	v_pack_b32_f16 v10, v10, v45
	v_pack_b32_f16 v12, v26, v28
	v_add_f16_e32 v44, v37, v43
	v_add_f16_e32 v34, v29, v15
	v_sub_f16_e32 v13, v36, v13
	v_sub_f16_e32 v17, v38, v17
	ds_write2_b32 v9, v10, v12 offset1:11
	v_pack_b32_f16 v10, v32, v39
	v_pack_b32_f16 v12, v40, v16
	v_sub_f16_e32 v14, v41, v14
	v_sub_f16_e32 v36, v42, v24
	;; [unrolled: 1-line block ×3, first 2 shown]
	ds_write2_b32 v9, v10, v12 offset0:22 offset1:33
	v_pack_b32_f16 v10, v44, v34
	v_pack_b32_f16 v12, v13, v17
	v_sub_f16_e32 v35, v6, v35
	v_sub_f16_e32 v6, v37, v43
	;; [unrolled: 1-line block ×3, first 2 shown]
	ds_write2_b32 v9, v10, v12 offset0:44 offset1:55
	v_pack_b32_f16 v10, v14, v25
	v_pack_b32_f16 v11, v36, v11
	ds_write2_b32 v9, v10, v11 offset0:66 offset1:77
	v_pack_b32_f16 v8, v35, v8
	v_pack_b32_f16 v10, v6, v24
	ds_write2_b32 v9, v8, v10 offset0:88 offset1:99
	s_waitcnt lgkmcnt(0)
	s_barrier
	ds_read_b32 v25, v23
	ds_read2_b32 v[14:15], v18 offset0:110 offset1:143
	ds_read2_b32 v[12:13], v18 offset0:176 offset1:220
	;; [unrolled: 1-line block ×4, first 2 shown]
	v_cmp_gt_u32_e64 s[0:1], 11, v5
                                        ; implicit-def: $vgpr22
                                        ; implicit-def: $vgpr23
	s_and_saveexec_b64 s[2:3], s[0:1]
	s_cbranch_execz .LBB0_16
; %bb.15:
	ds_read2_b32 v[6:7], v18 offset0:99 offset1:209
	ds_read_b32 v23, v18 offset:1276
	s_waitcnt lgkmcnt(1)
	v_lshrrev_b32_e32 v24, 16, v6
	s_waitcnt lgkmcnt(0)
	v_lshrrev_b32_e32 v22, 16, v23
	v_lshrrev_b32_e32 v20, 16, v7
.LBB0_16:
	s_or_b64 exec, exec, s[2:3]
	v_lshlrev_b32_e32 v10, 1, v5
	v_mov_b32_e32 v11, 0
	v_lshlrev_b64 v[26:27], 2, v[10:11]
	v_add_u32_e32 v28, 0x42, v10
	v_mov_b32_e32 v29, v11
	v_mov_b32_e32 v32, s13
	v_add_co_u32_e64 v26, s[2:3], s12, v26
	v_lshlrev_b64 v[28:29], 2, v[28:29]
	v_addc_co_u32_e64 v27, s[2:3], v32, v27, s[2:3]
	v_add_u32_e32 v10, 0x84, v10
	v_add_co_u32_e64 v28, s[2:3], s12, v28
	v_lshlrev_b64 v[30:31], 2, v[10:11]
	v_addc_co_u32_e64 v29, s[2:3], v32, v29, s[2:3]
	v_add_co_u32_e64 v30, s[2:3], s12, v30
	global_load_dwordx2 v[26:27], v[26:27], off offset:396
	v_addc_co_u32_e64 v31, s[2:3], v32, v31, s[2:3]
	global_load_dwordx2 v[28:29], v[28:29], off offset:396
	s_waitcnt lgkmcnt(2)
	v_lshrrev_b32_e32 v37, 16, v13
	global_load_dwordx2 v[30:31], v[30:31], off offset:396
	v_lshrrev_b32_e32 v38, 16, v14
	v_lshrrev_b32_e32 v34, 16, v12
	s_waitcnt lgkmcnt(0)
	v_lshrrev_b32_e32 v35, 16, v16
	v_lshrrev_b32_e32 v36, 16, v15
	v_lshl_add_u32 v10, v19, 2, v21
	v_lshrrev_b32_e32 v19, 16, v25
	v_lshrrev_b32_e32 v33, 16, v17
	;; [unrolled: 1-line block ×3, first 2 shown]
	s_movk_i32 s6, 0x3aee
	s_mov_b32 s7, 0xbaee
	v_lshrrev_b32_e32 v32, 16, v9
	s_waitcnt vmcnt(0)
	s_barrier
	v_mul_f16_sdwa v39, v26, v38 dst_sel:DWORD dst_unused:UNUSED_PAD src0_sel:WORD_1 src1_sel:DWORD
	v_mul_f16_sdwa v40, v26, v14 dst_sel:DWORD dst_unused:UNUSED_PAD src0_sel:WORD_1 src1_sel:DWORD
	;; [unrolled: 1-line block ×4, first 2 shown]
	v_fma_f16 v14, v26, v14, -v39
	v_fma_f16 v26, v26, v38, v40
	v_fma_f16 v13, v27, v13, -v41
	v_fma_f16 v27, v27, v37, v42
	v_mul_f16_sdwa v37, v28, v36 dst_sel:DWORD dst_unused:UNUSED_PAD src0_sel:WORD_1 src1_sel:DWORD
	v_mul_f16_sdwa v38, v28, v15 dst_sel:DWORD dst_unused:UNUSED_PAD src0_sel:WORD_1 src1_sel:DWORD
	;; [unrolled: 1-line block ×8, first 2 shown]
	v_fma_f16 v15, v28, v15, -v37
	v_fma_f16 v28, v28, v36, v38
	v_fma_f16 v16, v29, v16, -v39
	v_fma_f16 v29, v29, v35, v40
	v_fma_f16 v12, v30, v12, -v41
	v_fma_f16 v30, v30, v34, v42
	v_add_f16_e32 v34, v14, v13
	v_add_f16_e32 v36, v19, v26
	v_fma_f16 v17, v31, v17, -v43
	v_fma_f16 v31, v31, v33, v44
	v_add_f16_e32 v33, v25, v14
	v_sub_f16_e32 v35, v26, v27
	v_add_f16_e32 v26, v26, v27
	v_fma_f16 v25, v34, -0.5, v25
	v_add_f16_e32 v27, v36, v27
	v_sub_f16_e32 v34, v28, v29
	v_add_f16_e32 v36, v21, v28
	v_add_f16_e32 v28, v28, v29
	v_sub_f16_e32 v14, v14, v13
	v_add_f16_e32 v13, v33, v13
	v_fma_f16 v19, v26, -0.5, v19
	v_add_f16_e32 v26, v8, v15
	v_add_f16_e32 v33, v15, v16
	v_sub_f16_e32 v15, v15, v16
	v_fma_f16 v21, v28, -0.5, v21
	v_fma_f16 v38, v35, s6, v25
	v_fma_f16 v25, v35, s7, v25
	;; [unrolled: 1-line block ×4, first 2 shown]
	v_add_f16_e32 v19, v36, v29
	v_fma_f16 v29, v15, s7, v21
	v_fma_f16 v15, v15, s6, v21
	v_add_f16_e32 v21, v12, v17
	v_add_f16_e32 v37, v9, v12
	v_fma_f16 v9, v21, -0.5, v9
	v_sub_f16_e32 v21, v30, v31
	v_add_f16_e32 v16, v26, v16
	v_fma_f16 v8, v33, -0.5, v8
	v_fma_f16 v33, v21, s6, v9
	v_fma_f16 v9, v21, s7, v9
	v_add_f16_e32 v21, v32, v30
	v_add_f16_e32 v30, v30, v31
	v_pack_b32_f16 v14, v25, v14
	v_add_f16_e32 v26, v37, v17
	v_add_f16_e32 v21, v21, v31
	v_fma_f16 v30, v30, -0.5, v32
	v_sub_f16_e32 v12, v12, v17
	v_pack_b32_f16 v13, v13, v27
	ds_write_b32 v18, v14 offset:880
	v_pack_b32_f16 v14, v16, v19
	v_fma_f16 v28, v34, s6, v8
	v_fma_f16 v17, v12, s7, v30
	v_pack_b32_f16 v27, v38, v35
	ds_write2_b32 v18, v13, v14 offset1:33
	v_pack_b32_f16 v14, v26, v21
	v_fma_f16 v8, v34, s7, v8
	v_fma_f16 v12, v12, s6, v30
	v_pack_b32_f16 v13, v28, v29
	ds_write2_b32 v18, v14, v27 offset0:66 offset1:110
	v_pack_b32_f16 v14, v33, v17
	v_pack_b32_f16 v8, v8, v15
	ds_write2_b32 v10, v13, v14 offset0:143 offset1:176
	v_pack_b32_f16 v9, v9, v12
	v_add_u32_e32 v10, 0x200, v10
	ds_write2_b32 v10, v8, v9 offset0:125 offset1:158
	s_and_saveexec_b64 s[2:3], s[0:1]
	s_cbranch_execz .LBB0_18
; %bb.17:
	v_mov_b32_e32 v8, 0x63
	v_cndmask_b32_e64 v8, -11, v8, s[0:1]
	v_add_lshl_u32 v10, v5, v8, 1
	v_lshlrev_b64 v[8:9], 2, v[10:11]
	v_mov_b32_e32 v10, s13
	v_add_co_u32_e64 v8, s[0:1], s12, v8
	v_addc_co_u32_e64 v9, s[0:1], v10, v9, s[0:1]
	global_load_dwordx2 v[8:9], v[8:9], off offset:396
	s_waitcnt vmcnt(0)
	v_mul_f16_sdwa v10, v20, v8 dst_sel:DWORD dst_unused:UNUSED_PAD src0_sel:DWORD src1_sel:WORD_1
	v_mul_f16_sdwa v11, v22, v9 dst_sel:DWORD dst_unused:UNUSED_PAD src0_sel:DWORD src1_sel:WORD_1
	;; [unrolled: 1-line block ×4, first 2 shown]
	v_fma_f16 v7, v7, v8, -v10
	v_fma_f16 v10, v23, v9, -v11
	v_fma_f16 v8, v20, v8, v12
	v_fma_f16 v9, v22, v9, v13
	v_add_f16_e32 v12, v8, v9
	v_add_f16_e32 v14, v7, v10
	v_sub_f16_e32 v11, v7, v10
	v_add_f16_e32 v13, v24, v8
	v_sub_f16_e32 v8, v8, v9
	v_add_f16_e32 v7, v6, v7
	v_fma_f16 v12, v12, -0.5, v24
	v_fma_f16 v6, v14, -0.5, v6
	v_add_f16_e32 v9, v13, v9
	v_add_f16_e32 v7, v7, v10
	v_fma_f16 v10, v11, s6, v12
	v_fma_f16 v11, v11, s7, v12
	;; [unrolled: 1-line block ×4, first 2 shown]
	v_pack_b32_f16 v7, v7, v9
	v_pack_b32_f16 v6, v6, v11
	v_pack_b32_f16 v8, v12, v10
	ds_write2_b32 v18, v7, v6 offset0:99 offset1:209
	ds_write_b32 v18, v8 offset:1276
.LBB0_18:
	s_or_b64 exec, exec, s[2:3]
	s_waitcnt lgkmcnt(0)
	s_barrier
	s_and_saveexec_b64 s[0:1], vcc
	s_cbranch_execz .LBB0_20
; %bb.19:
	v_mul_lo_u32 v6, s5, v3
	v_mul_lo_u32 v7, s4, v4
	v_mad_u64_u32 v[3:4], s[0:1], s4, v3, 0
	v_lshl_add_u32 v9, v5, 2, v0
	v_mov_b32_e32 v0, s11
	v_add3_u32 v4, v4, v7, v6
	v_lshlrev_b64 v[3:4], 2, v[3:4]
	v_mov_b32_e32 v6, 0
	v_add_co_u32_e32 v3, vcc, s10, v3
	v_addc_co_u32_e32 v4, vcc, v0, v4, vcc
	v_lshlrev_b64 v[0:1], 2, v[1:2]
	ds_read2_b32 v[7:8], v9 offset1:33
	v_add_co_u32_e32 v10, vcc, v3, v0
	v_addc_co_u32_e32 v4, vcc, v4, v1, vcc
	v_lshlrev_b64 v[0:1], 2, v[5:6]
	ds_read2_b32 v[2:3], v9 offset0:66 offset1:99
	v_add_co_u32_e32 v0, vcc, v10, v0
	v_addc_co_u32_e32 v1, vcc, v4, v1, vcc
	s_waitcnt lgkmcnt(1)
	global_store_dword v[0:1], v7, off
	v_add_u32_e32 v0, 33, v5
	v_mov_b32_e32 v1, v6
	v_lshlrev_b64 v[0:1], 2, v[0:1]
	v_add_co_u32_e32 v0, vcc, v10, v0
	v_addc_co_u32_e32 v1, vcc, v4, v1, vcc
	global_store_dword v[0:1], v8, off
	v_add_u32_e32 v0, 0x42, v5
	v_mov_b32_e32 v1, v6
	v_lshlrev_b64 v[0:1], 2, v[0:1]
	v_add_co_u32_e32 v0, vcc, v10, v0
	v_addc_co_u32_e32 v1, vcc, v4, v1, vcc
	s_waitcnt lgkmcnt(0)
	global_store_dword v[0:1], v2, off
	v_add_u32_e32 v0, 0x63, v5
	v_mov_b32_e32 v1, v6
	v_lshlrev_b64 v[0:1], 2, v[0:1]
	v_add_co_u32_e32 v0, vcc, v10, v0
	v_addc_co_u32_e32 v1, vcc, v4, v1, vcc
	global_store_dword v[0:1], v3, off
	v_add_u32_e32 v0, 0x84, v5
	v_mov_b32_e32 v1, v6
	ds_read2_b32 v[2:3], v9 offset0:132 offset1:165
	v_lshlrev_b64 v[0:1], 2, v[0:1]
	v_add_co_u32_e32 v0, vcc, v10, v0
	v_addc_co_u32_e32 v1, vcc, v4, v1, vcc
	s_waitcnt lgkmcnt(0)
	global_store_dword v[0:1], v2, off
	v_add_u32_e32 v0, 0xa5, v5
	v_mov_b32_e32 v1, v6
	v_lshlrev_b64 v[0:1], 2, v[0:1]
	v_add_co_u32_e32 v0, vcc, v10, v0
	v_addc_co_u32_e32 v1, vcc, v4, v1, vcc
	global_store_dword v[0:1], v3, off
	v_add_u32_e32 v0, 0xc6, v5
	v_mov_b32_e32 v1, v6
	ds_read2_b32 v[2:3], v9 offset0:198 offset1:231
	v_lshlrev_b64 v[0:1], 2, v[0:1]
	v_add_co_u32_e32 v0, vcc, v10, v0
	v_addc_co_u32_e32 v1, vcc, v4, v1, vcc
	s_waitcnt lgkmcnt(0)
	global_store_dword v[0:1], v2, off
	v_add_u32_e32 v0, 0xe7, v5
	v_mov_b32_e32 v1, v6
	v_lshlrev_b64 v[0:1], 2, v[0:1]
	v_add_u32_e32 v2, 0x400, v9
	v_add_co_u32_e32 v0, vcc, v10, v0
	v_addc_co_u32_e32 v1, vcc, v4, v1, vcc
	global_store_dword v[0:1], v3, off
	v_add_u32_e32 v0, 0x108, v5
	v_mov_b32_e32 v1, v6
	ds_read2_b32 v[2:3], v2 offset0:8 offset1:41
	v_lshlrev_b64 v[0:1], 2, v[0:1]
	v_add_u32_e32 v5, 0x129, v5
	v_add_co_u32_e32 v0, vcc, v10, v0
	v_addc_co_u32_e32 v1, vcc, v4, v1, vcc
	s_waitcnt lgkmcnt(0)
	global_store_dword v[0:1], v2, off
	v_lshlrev_b64 v[0:1], 2, v[5:6]
	v_add_co_u32_e32 v0, vcc, v10, v0
	v_addc_co_u32_e32 v1, vcc, v4, v1, vcc
	global_store_dword v[0:1], v3, off
.LBB0_20:
	s_endpgm
	.section	.rodata,"a",@progbits
	.p2align	6, 0x0
	.amdhsa_kernel fft_rtc_fwd_len330_factors_11_10_3_wgs_99_tpt_33_half_op_CI_CI_unitstride_sbrr_dirReg
		.amdhsa_group_segment_fixed_size 0
		.amdhsa_private_segment_fixed_size 0
		.amdhsa_kernarg_size 104
		.amdhsa_user_sgpr_count 6
		.amdhsa_user_sgpr_private_segment_buffer 1
		.amdhsa_user_sgpr_dispatch_ptr 0
		.amdhsa_user_sgpr_queue_ptr 0
		.amdhsa_user_sgpr_kernarg_segment_ptr 1
		.amdhsa_user_sgpr_dispatch_id 0
		.amdhsa_user_sgpr_flat_scratch_init 0
		.amdhsa_user_sgpr_private_segment_size 0
		.amdhsa_uses_dynamic_stack 0
		.amdhsa_system_sgpr_private_segment_wavefront_offset 0
		.amdhsa_system_sgpr_workgroup_id_x 1
		.amdhsa_system_sgpr_workgroup_id_y 0
		.amdhsa_system_sgpr_workgroup_id_z 0
		.amdhsa_system_sgpr_workgroup_info 0
		.amdhsa_system_vgpr_workitem_id 0
		.amdhsa_next_free_vgpr 74
		.amdhsa_next_free_sgpr 28
		.amdhsa_reserve_vcc 1
		.amdhsa_reserve_flat_scratch 0
		.amdhsa_float_round_mode_32 0
		.amdhsa_float_round_mode_16_64 0
		.amdhsa_float_denorm_mode_32 3
		.amdhsa_float_denorm_mode_16_64 3
		.amdhsa_dx10_clamp 1
		.amdhsa_ieee_mode 1
		.amdhsa_fp16_overflow 0
		.amdhsa_exception_fp_ieee_invalid_op 0
		.amdhsa_exception_fp_denorm_src 0
		.amdhsa_exception_fp_ieee_div_zero 0
		.amdhsa_exception_fp_ieee_overflow 0
		.amdhsa_exception_fp_ieee_underflow 0
		.amdhsa_exception_fp_ieee_inexact 0
		.amdhsa_exception_int_div_zero 0
	.end_amdhsa_kernel
	.text
.Lfunc_end0:
	.size	fft_rtc_fwd_len330_factors_11_10_3_wgs_99_tpt_33_half_op_CI_CI_unitstride_sbrr_dirReg, .Lfunc_end0-fft_rtc_fwd_len330_factors_11_10_3_wgs_99_tpt_33_half_op_CI_CI_unitstride_sbrr_dirReg
                                        ; -- End function
	.section	.AMDGPU.csdata,"",@progbits
; Kernel info:
; codeLenInByte = 7004
; NumSgprs: 32
; NumVgprs: 74
; ScratchSize: 0
; MemoryBound: 0
; FloatMode: 240
; IeeeMode: 1
; LDSByteSize: 0 bytes/workgroup (compile time only)
; SGPRBlocks: 3
; VGPRBlocks: 18
; NumSGPRsForWavesPerEU: 32
; NumVGPRsForWavesPerEU: 74
; Occupancy: 3
; WaveLimiterHint : 1
; COMPUTE_PGM_RSRC2:SCRATCH_EN: 0
; COMPUTE_PGM_RSRC2:USER_SGPR: 6
; COMPUTE_PGM_RSRC2:TRAP_HANDLER: 0
; COMPUTE_PGM_RSRC2:TGID_X_EN: 1
; COMPUTE_PGM_RSRC2:TGID_Y_EN: 0
; COMPUTE_PGM_RSRC2:TGID_Z_EN: 0
; COMPUTE_PGM_RSRC2:TIDIG_COMP_CNT: 0
	.type	__hip_cuid_2e34ccc0fd858723,@object ; @__hip_cuid_2e34ccc0fd858723
	.section	.bss,"aw",@nobits
	.globl	__hip_cuid_2e34ccc0fd858723
__hip_cuid_2e34ccc0fd858723:
	.byte	0                               ; 0x0
	.size	__hip_cuid_2e34ccc0fd858723, 1

	.ident	"AMD clang version 19.0.0git (https://github.com/RadeonOpenCompute/llvm-project roc-6.4.0 25133 c7fe45cf4b819c5991fe208aaa96edf142730f1d)"
	.section	".note.GNU-stack","",@progbits
	.addrsig
	.addrsig_sym __hip_cuid_2e34ccc0fd858723
	.amdgpu_metadata
---
amdhsa.kernels:
  - .args:
      - .actual_access:  read_only
        .address_space:  global
        .offset:         0
        .size:           8
        .value_kind:     global_buffer
      - .offset:         8
        .size:           8
        .value_kind:     by_value
      - .actual_access:  read_only
        .address_space:  global
        .offset:         16
        .size:           8
        .value_kind:     global_buffer
      - .actual_access:  read_only
        .address_space:  global
        .offset:         24
        .size:           8
        .value_kind:     global_buffer
      - .actual_access:  read_only
        .address_space:  global
        .offset:         32
        .size:           8
        .value_kind:     global_buffer
      - .offset:         40
        .size:           8
        .value_kind:     by_value
      - .actual_access:  read_only
        .address_space:  global
        .offset:         48
        .size:           8
        .value_kind:     global_buffer
      - .actual_access:  read_only
        .address_space:  global
        .offset:         56
        .size:           8
        .value_kind:     global_buffer
      - .offset:         64
        .size:           4
        .value_kind:     by_value
      - .actual_access:  read_only
        .address_space:  global
        .offset:         72
        .size:           8
        .value_kind:     global_buffer
      - .actual_access:  read_only
        .address_space:  global
        .offset:         80
        .size:           8
        .value_kind:     global_buffer
      - .actual_access:  read_only
        .address_space:  global
        .offset:         88
        .size:           8
        .value_kind:     global_buffer
      - .actual_access:  write_only
        .address_space:  global
        .offset:         96
        .size:           8
        .value_kind:     global_buffer
    .group_segment_fixed_size: 0
    .kernarg_segment_align: 8
    .kernarg_segment_size: 104
    .language:       OpenCL C
    .language_version:
      - 2
      - 0
    .max_flat_workgroup_size: 99
    .name:           fft_rtc_fwd_len330_factors_11_10_3_wgs_99_tpt_33_half_op_CI_CI_unitstride_sbrr_dirReg
    .private_segment_fixed_size: 0
    .sgpr_count:     32
    .sgpr_spill_count: 0
    .symbol:         fft_rtc_fwd_len330_factors_11_10_3_wgs_99_tpt_33_half_op_CI_CI_unitstride_sbrr_dirReg.kd
    .uniform_work_group_size: 1
    .uses_dynamic_stack: false
    .vgpr_count:     74
    .vgpr_spill_count: 0
    .wavefront_size: 64
amdhsa.target:   amdgcn-amd-amdhsa--gfx906
amdhsa.version:
  - 1
  - 2
...

	.end_amdgpu_metadata
